;; amdgpu-corpus repo=ROCm/rocFFT kind=compiled arch=gfx950 opt=O3
	.text
	.amdgcn_target "amdgcn-amd-amdhsa--gfx950"
	.amdhsa_code_object_version 6
	.protected	fft_rtc_fwd_len264_factors_8_3_11_wgs_231_tpt_33_sp_op_CI_CI_sbrr_dirReg ; -- Begin function fft_rtc_fwd_len264_factors_8_3_11_wgs_231_tpt_33_sp_op_CI_CI_sbrr_dirReg
	.globl	fft_rtc_fwd_len264_factors_8_3_11_wgs_231_tpt_33_sp_op_CI_CI_sbrr_dirReg
	.p2align	8
	.type	fft_rtc_fwd_len264_factors_8_3_11_wgs_231_tpt_33_sp_op_CI_CI_sbrr_dirReg,@function
fft_rtc_fwd_len264_factors_8_3_11_wgs_231_tpt_33_sp_op_CI_CI_sbrr_dirReg: ; @fft_rtc_fwd_len264_factors_8_3_11_wgs_231_tpt_33_sp_op_CI_CI_sbrr_dirReg
; %bb.0:
	s_load_dwordx4 s[12:15], s[0:1], 0x18
	s_load_dwordx4 s[8:11], s[0:1], 0x0
	;; [unrolled: 1-line block ×3, first 2 shown]
	v_mul_u32_u24_e32 v1, 0x7c2, v0
	v_lshrrev_b32_e32 v2, 16, v1
	s_waitcnt lgkmcnt(0)
	s_load_dwordx2 s[18:19], s[12:13], 0x0
	s_load_dwordx2 s[16:17], s[14:15], 0x0
	v_mad_u64_u32 v[2:3], s[2:3], s2, 7, v[2:3]
	v_mov_b32_e32 v6, 0
	v_mov_b32_e32 v3, v6
	v_cmp_lt_u64_e64 s[2:3], s[10:11], 2
	v_mov_b64_e32 v[4:5], 0
	s_and_b64 vcc, exec, s[2:3]
	v_mov_b64_e32 v[20:21], v[4:5]
	v_mov_b64_e32 v[22:23], v[2:3]
	s_cbranch_vccnz .LBB0_8
; %bb.1:
	s_load_dwordx2 s[2:3], s[0:1], 0x10
	s_add_u32 s20, s14, 8
	s_addc_u32 s21, s15, 0
	s_add_u32 s22, s12, 8
	s_addc_u32 s23, s13, 0
	s_waitcnt lgkmcnt(0)
	s_add_u32 s24, s2, 8
	v_mov_b64_e32 v[4:5], 0
	s_addc_u32 s25, s3, 0
	s_mov_b64 s[26:27], 1
	v_mov_b64_e32 v[20:21], v[4:5]
	v_mov_b64_e32 v[8:9], v[2:3]
.LBB0_2:                                ; =>This Inner Loop Header: Depth=1
	s_load_dwordx2 s[28:29], s[24:25], 0x0
                                        ; implicit-def: $vgpr22_vgpr23
	s_waitcnt lgkmcnt(0)
	v_or_b32_e32 v7, s29, v9
	v_cmp_ne_u64_e32 vcc, 0, v[6:7]
	s_and_saveexec_b64 s[2:3], vcc
	s_xor_b64 s[30:31], exec, s[2:3]
	s_cbranch_execz .LBB0_4
; %bb.3:                                ;   in Loop: Header=BB0_2 Depth=1
	v_cvt_f32_u32_e32 v1, s28
	v_cvt_f32_u32_e32 v3, s29
	s_sub_u32 s2, 0, s28
	s_subb_u32 s3, 0, s29
	v_fmac_f32_e32 v1, 0x4f800000, v3
	v_rcp_f32_e32 v1, v1
	s_nop 0
	v_mul_f32_e32 v1, 0x5f7ffffc, v1
	v_mul_f32_e32 v3, 0x2f800000, v1
	v_trunc_f32_e32 v3, v3
	v_fmac_f32_e32 v1, 0xcf800000, v3
	v_cvt_u32_f32_e32 v3, v3
	v_cvt_u32_f32_e32 v1, v1
	v_mul_lo_u32 v7, s2, v3
	v_mul_hi_u32 v10, s2, v1
	v_mul_lo_u32 v11, s3, v1
	v_add_u32_e32 v7, v10, v7
	v_mul_lo_u32 v14, s2, v1
	v_add_u32_e32 v7, v7, v11
	v_mul_hi_u32 v10, v1, v14
	v_mul_hi_u32 v13, v1, v7
	v_mul_lo_u32 v12, v1, v7
	v_mov_b32_e32 v11, v6
	v_lshl_add_u64 v[10:11], v[10:11], 0, v[12:13]
	v_mul_hi_u32 v13, v3, v14
	v_mul_lo_u32 v14, v3, v14
	v_add_co_u32_e32 v10, vcc, v10, v14
	v_mul_hi_u32 v12, v3, v7
	s_nop 0
	v_addc_co_u32_e32 v10, vcc, v11, v13, vcc
	v_mov_b32_e32 v11, v6
	s_nop 0
	v_addc_co_u32_e32 v13, vcc, 0, v12, vcc
	v_mul_lo_u32 v12, v3, v7
	v_lshl_add_u64 v[10:11], v[10:11], 0, v[12:13]
	v_add_co_u32_e32 v1, vcc, v1, v10
	v_mul_hi_u32 v10, s2, v1
	s_nop 0
	v_addc_co_u32_e32 v3, vcc, v3, v11, vcc
	v_mul_lo_u32 v7, s2, v3
	v_add_u32_e32 v7, v10, v7
	v_mul_lo_u32 v10, s3, v1
	v_add_u32_e32 v7, v7, v10
	v_mul_lo_u32 v12, s2, v1
	v_mul_hi_u32 v15, v3, v12
	v_mul_lo_u32 v16, v3, v12
	v_mul_hi_u32 v11, v1, v7
	v_mul_lo_u32 v10, v1, v7
	v_mul_hi_u32 v12, v1, v12
	v_mov_b32_e32 v13, v6
	v_lshl_add_u64 v[10:11], v[12:13], 0, v[10:11]
	v_add_co_u32_e32 v10, vcc, v10, v16
	v_mul_hi_u32 v14, v3, v7
	s_nop 0
	v_addc_co_u32_e32 v10, vcc, v11, v15, vcc
	v_mul_lo_u32 v12, v3, v7
	s_nop 0
	v_addc_co_u32_e32 v13, vcc, 0, v14, vcc
	v_mov_b32_e32 v11, v6
	v_lshl_add_u64 v[10:11], v[10:11], 0, v[12:13]
	v_add_co_u32_e32 v1, vcc, v1, v10
	v_mul_hi_u32 v12, v8, v1
	s_nop 0
	v_addc_co_u32_e32 v3, vcc, v3, v11, vcc
	v_mad_u64_u32 v[10:11], s[2:3], v8, v3, 0
	v_mov_b32_e32 v13, v6
	v_lshl_add_u64 v[10:11], v[12:13], 0, v[10:11]
	v_mad_u64_u32 v[14:15], s[2:3], v9, v1, 0
	v_add_co_u32_e32 v1, vcc, v10, v14
	v_mad_u64_u32 v[12:13], s[2:3], v9, v3, 0
	s_nop 0
	v_addc_co_u32_e32 v10, vcc, v11, v15, vcc
	v_mov_b32_e32 v11, v6
	s_nop 0
	v_addc_co_u32_e32 v13, vcc, 0, v13, vcc
	v_lshl_add_u64 v[10:11], v[10:11], 0, v[12:13]
	v_mul_lo_u32 v1, s29, v10
	v_mul_lo_u32 v3, s28, v11
	v_mad_u64_u32 v[12:13], s[2:3], s28, v10, 0
	v_add3_u32 v1, v13, v3, v1
	v_sub_u32_e32 v3, v9, v1
	v_mov_b32_e32 v7, s29
	v_sub_co_u32_e32 v16, vcc, v8, v12
	v_lshl_add_u64 v[14:15], v[10:11], 0, 1
	s_nop 0
	v_subb_co_u32_e64 v3, s[2:3], v3, v7, vcc
	v_subrev_co_u32_e64 v7, s[2:3], s28, v16
	v_subb_co_u32_e32 v1, vcc, v9, v1, vcc
	s_nop 0
	v_subbrev_co_u32_e64 v3, s[2:3], 0, v3, s[2:3]
	v_cmp_le_u32_e64 s[2:3], s29, v3
	v_cmp_le_u32_e32 vcc, s29, v1
	s_nop 0
	v_cndmask_b32_e64 v12, 0, -1, s[2:3]
	v_cmp_le_u32_e64 s[2:3], s28, v7
	s_nop 1
	v_cndmask_b32_e64 v7, 0, -1, s[2:3]
	v_cmp_eq_u32_e64 s[2:3], s29, v3
	s_nop 1
	v_cndmask_b32_e64 v3, v12, v7, s[2:3]
	v_lshl_add_u64 v[12:13], v[10:11], 0, 2
	v_cmp_ne_u32_e64 s[2:3], 0, v3
	v_cndmask_b32_e64 v7, 0, -1, vcc
	v_cmp_le_u32_e32 vcc, s28, v16
	v_cndmask_b32_e64 v3, v15, v13, s[2:3]
	s_nop 0
	v_cndmask_b32_e64 v13, 0, -1, vcc
	v_cmp_eq_u32_e32 vcc, s29, v1
	s_nop 1
	v_cndmask_b32_e32 v1, v7, v13, vcc
	v_cmp_ne_u32_e32 vcc, 0, v1
	v_cndmask_b32_e64 v1, v14, v12, s[2:3]
	s_nop 0
	v_cndmask_b32_e32 v23, v11, v3, vcc
	v_cndmask_b32_e32 v22, v10, v1, vcc
.LBB0_4:                                ;   in Loop: Header=BB0_2 Depth=1
	s_andn2_saveexec_b64 s[2:3], s[30:31]
	s_cbranch_execz .LBB0_6
; %bb.5:                                ;   in Loop: Header=BB0_2 Depth=1
	v_cvt_f32_u32_e32 v1, s28
	s_sub_i32 s30, 0, s28
	v_mov_b32_e32 v23, v6
	v_rcp_iflag_f32_e32 v1, v1
	s_nop 0
	v_mul_f32_e32 v1, 0x4f7ffffe, v1
	v_cvt_u32_f32_e32 v1, v1
	v_mul_lo_u32 v3, s30, v1
	v_mul_hi_u32 v3, v1, v3
	v_add_u32_e32 v1, v1, v3
	v_mul_hi_u32 v1, v8, v1
	v_mul_lo_u32 v3, v1, s28
	v_sub_u32_e32 v3, v8, v3
	v_add_u32_e32 v7, 1, v1
	v_subrev_u32_e32 v10, s28, v3
	v_cmp_le_u32_e32 vcc, s28, v3
	s_nop 1
	v_cndmask_b32_e32 v3, v3, v10, vcc
	v_cndmask_b32_e32 v1, v1, v7, vcc
	v_add_u32_e32 v7, 1, v1
	v_cmp_le_u32_e32 vcc, s28, v3
	s_nop 1
	v_cndmask_b32_e32 v22, v1, v7, vcc
.LBB0_6:                                ;   in Loop: Header=BB0_2 Depth=1
	s_or_b64 exec, exec, s[2:3]
	v_mad_u64_u32 v[10:11], s[2:3], v22, s28, 0
	s_load_dwordx2 s[2:3], s[22:23], 0x0
	s_add_u32 s26, s26, 1
	v_mul_lo_u32 v1, v23, s28
	v_mul_lo_u32 v3, v22, s29
	s_load_dwordx2 s[28:29], s[20:21], 0x0
	s_addc_u32 s27, s27, 0
	v_add3_u32 v1, v11, v3, v1
	v_sub_co_u32_e32 v3, vcc, v8, v10
	s_add_u32 s20, s20, 8
	s_nop 0
	v_subb_co_u32_e32 v1, vcc, v9, v1, vcc
	s_addc_u32 s21, s21, 0
	s_waitcnt lgkmcnt(0)
	v_mul_lo_u32 v7, s2, v1
	v_mul_lo_u32 v8, s3, v3
	v_mad_u64_u32 v[4:5], s[2:3], s2, v3, v[4:5]
	s_add_u32 s22, s22, 8
	v_add3_u32 v5, v8, v5, v7
	s_addc_u32 s23, s23, 0
	v_mov_b64_e32 v[8:9], s[10:11]
	v_mul_lo_u32 v1, s28, v1
	v_mul_lo_u32 v7, s29, v3
	v_mad_u64_u32 v[20:21], s[2:3], s28, v3, v[20:21]
	s_add_u32 s24, s24, 8
	v_cmp_ge_u64_e32 vcc, s[26:27], v[8:9]
	v_add3_u32 v21, v7, v21, v1
	s_addc_u32 s25, s25, 0
	s_cbranch_vccnz .LBB0_8
; %bb.7:                                ;   in Loop: Header=BB0_2 Depth=1
	v_mov_b64_e32 v[8:9], v[22:23]
	s_branch .LBB0_2
.LBB0_8:
	s_load_dwordx2 s[0:1], s[0:1], 0x28
	s_lshl_b64 s[10:11], s[10:11], 3
	s_add_u32 s2, s14, s10
	s_addc_u32 s3, s15, s11
                                        ; implicit-def: $sgpr14_sgpr15
                                        ; implicit-def: $vgpr28
                                        ; implicit-def: $vgpr25
                                        ; implicit-def: $vgpr29
	s_waitcnt lgkmcnt(0)
	v_cmp_gt_u64_e32 vcc, s[0:1], v[22:23]
	v_cmp_le_u64_e64 s[0:1], s[0:1], v[22:23]
	s_and_saveexec_b64 s[20:21], s[0:1]
	s_xor_b64 s[0:1], exec, s[20:21]
; %bb.9:
	s_mov_b32 s14, 0x7c1f07d
	v_mul_hi_u32 v1, v0, s14
	v_mul_u32_u24_e32 v1, 33, v1
	v_sub_u32_e32 v28, v0, v1
	v_add_u32_e32 v25, 33, v28
	v_add_u32_e32 v29, 0x42, v28
	s_mov_b64 s[14:15], 0
                                        ; implicit-def: $vgpr0
                                        ; implicit-def: $vgpr4_vgpr5
; %bb.10:
	s_or_saveexec_b64 s[0:1], s[0:1]
	v_mov_b64_e32 v[6:7], s[14:15]
	v_mov_b64_e32 v[10:11], s[14:15]
	;; [unrolled: 1-line block ×4, first 2 shown]
                                        ; implicit-def: $vgpr14
                                        ; implicit-def: $vgpr16
                                        ; implicit-def: $vgpr19
                                        ; implicit-def: $vgpr1
	s_xor_b64 exec, exec, s[0:1]
	s_cbranch_execz .LBB0_12
; %bb.11:
	s_add_u32 s10, s12, s10
	s_addc_u32 s11, s13, s11
	s_load_dwordx2 s[10:11], s[10:11], 0x0
	s_mov_b32 s12, 0x7c1f07d
	s_waitcnt lgkmcnt(0)
	v_mul_lo_u32 v1, s11, v22
	v_mul_lo_u32 v3, s10, v23
	v_mad_u64_u32 v[6:7], s[10:11], s10, v22, 0
	v_add3_u32 v7, v7, v3, v1
	v_mul_hi_u32 v1, v0, s12
	v_mul_u32_u24_e32 v1, 33, v1
	v_sub_u32_e32 v28, v0, v1
	v_mad_u64_u32 v[0:1], s[10:11], s18, v28, 0
	v_mov_b32_e32 v8, v1
	v_lshl_add_u64 v[6:7], v[6:7], 3, s[4:5]
	v_add_u32_e32 v25, 33, v28
	v_mad_u64_u32 v[8:9], s[10:11], s19, v28, v[8:9]
	v_lshl_add_u64 v[4:5], v[4:5], 3, v[6:7]
	v_mad_u64_u32 v[6:7], s[4:5], s18, v25, 0
	v_mov_b32_e32 v1, v8
	v_mov_b32_e32 v8, v7
	v_mad_u64_u32 v[8:9], s[4:5], s19, v25, v[8:9]
	v_mov_b32_e32 v7, v8
	v_add_u32_e32 v29, 0x42, v28
	v_lshl_add_u64 v[18:19], v[6:7], 3, v[4:5]
	v_mad_u64_u32 v[6:7], s[4:5], s18, v29, 0
	v_mov_b32_e32 v8, v7
	v_mad_u64_u32 v[8:9], s[4:5], s19, v29, v[8:9]
	v_mov_b32_e32 v7, v8
	v_add_u32_e32 v3, 0x63, v28
	v_lshl_add_u64 v[26:27], v[6:7], 3, v[4:5]
	v_mad_u64_u32 v[6:7], s[4:5], s18, v3, 0
	;; [unrolled: 6-line block ×6, first 2 shown]
	v_mov_b32_e32 v8, v7
	v_mad_u64_u32 v[8:9], s[4:5], s19, v3, v[8:9]
	v_mov_b32_e32 v7, v8
	v_lshl_add_u64 v[0:1], v[0:1], 3, v[4:5]
	v_lshl_add_u64 v[4:5], v[6:7], 3, v[4:5]
	global_load_dwordx2 v[14:15], v[32:33], off
	global_load_dwordx2 v[38:39], v[34:35], off
	;; [unrolled: 1-line block ×8, first 2 shown]
	s_waitcnt vmcnt(6)
	v_mov_b32_e32 v19, v38
	v_mov_b32_e32 v18, v39
	s_waitcnt vmcnt(4)
	v_mov_b32_e32 v1, v40
	v_mov_b32_e32 v0, v41
.LBB0_12:
	s_or_b64 exec, exec, s[0:1]
	s_mov_b32 s0, 0x24924925
	v_mul_hi_u32 v3, v2, s0
	v_sub_u32_e32 v4, v2, v3
	v_lshrrev_b32_e32 v4, 1, v4
	v_add_u32_e32 v3, v4, v3
	v_lshrrev_b32_e32 v3, 2, v3
	v_mul_lo_u32 v3, v3, 7
	v_sub_u32_e32 v2, v2, v3
	s_waitcnt vmcnt(3)
	v_pk_add_f32 v[4:5], v[6:7], v[14:15] neg_lo:[0,1] neg_hi:[0,1]
	s_waitcnt vmcnt(1)
	v_pk_add_f32 v[14:15], v[10:11], v[16:17] neg_lo:[0,1] neg_hi:[0,1]
	v_mul_u32_u24_e32 v24, 0x108, v2
	v_pk_fma_f32 v[2:3], v[10:11], 2.0, v[14:15] op_sel_hi:[1,0,1] neg_lo:[0,0,1] neg_hi:[0,0,1]
	v_mov_b32_e32 v10, v9
	v_mov_b32_e32 v11, v8
	s_waitcnt vmcnt(0)
	v_mov_b32_e32 v16, v13
	v_mov_b32_e32 v17, v12
	v_pk_add_f32 v[8:9], v[10:11], v[18:19] neg_lo:[0,1] neg_hi:[0,1]
	v_pk_add_f32 v[0:1], v[16:17], v[0:1] neg_lo:[0,1] neg_hi:[0,1]
	v_pk_add_f32 v[26:27], v[4:5], v[14:15] op_sel:[0,1] op_sel_hi:[1,0] neg_lo:[0,1] neg_hi:[0,1]
	v_pk_add_f32 v[14:15], v[4:5], v[14:15] op_sel:[0,1] op_sel_hi:[1,0]
	v_pk_fma_f32 v[12:13], v[16:17], 2.0, v[0:1] op_sel_hi:[1,0,1] neg_lo:[0,0,1] neg_hi:[0,0,1]
	v_mov_b32_e32 v27, v15
	v_pk_add_f32 v[14:15], v[8:9], v[0:1] op_sel:[1,0] op_sel_hi:[0,1] neg_lo:[0,1] neg_hi:[0,1]
	v_pk_add_f32 v[0:1], v[8:9], v[0:1] op_sel:[1,0] op_sel_hi:[0,1]
	v_mov_b32_e32 v15, v1
	v_pk_fma_f32 v[6:7], v[6:7], 2.0, v[4:5] op_sel_hi:[1,0,1] neg_lo:[0,0,1] neg_hi:[0,0,1]
	v_pk_fma_f32 v[10:11], v[10:11], 2.0, v[8:9] op_sel_hi:[1,0,1] neg_lo:[0,0,1] neg_hi:[0,0,1]
	;; [unrolled: 1-line block ×3, first 2 shown]
	v_pk_fma_f32 v[0:1], v[8:9], 2.0, v[14:15] op_sel:[1,0,0] op_sel_hi:[0,0,1] neg_lo:[0,0,1] neg_hi:[0,0,1]
	s_mov_b32 s0, 0x3f3504f3
	v_pk_add_f32 v[16:17], v[6:7], v[2:3] neg_lo:[0,1] neg_hi:[0,1]
	v_pk_add_f32 v[18:19], v[10:11], v[12:13] neg_lo:[0,1] neg_hi:[0,1]
	v_pk_mul_f32 v[8:9], v[0:1], s[0:1] op_sel_hi:[1,0]
	v_pk_fma_f32 v[0:1], v[0:1], s[0:1], v[4:5] op_sel_hi:[1,0,1] neg_lo:[1,0,0] neg_hi:[1,0,0]
	v_pk_add_f32 v[2:3], v[16:17], v[18:19]
	v_pk_fma_f32 v[6:7], v[6:7], 2.0, v[16:17] op_sel_hi:[1,0,1] neg_lo:[0,0,1] neg_hi:[0,0,1]
	v_pk_fma_f32 v[10:11], v[10:11], 2.0, v[18:19] op_sel_hi:[1,0,1] neg_lo:[0,0,1] neg_hi:[0,0,1]
	v_pk_add_f32 v[30:31], v[0:1], v[8:9] op_sel:[0,1] op_sel_hi:[1,0] neg_lo:[0,1] neg_hi:[0,1]
	v_pk_add_f32 v[8:9], v[0:1], v[8:9] op_sel:[0,1] op_sel_hi:[1,0]
	v_lshl_add_u32 v2, v24, 3, 0
	v_pk_add_f32 v[10:11], v[6:7], v[10:11] op_sel:[0,1] op_sel_hi:[1,0] neg_lo:[0,1] neg_hi:[0,1]
	v_mov_b32_e32 v31, v9
	v_lshl_add_u32 v32, v28, 6, v2
	v_pk_fma_f32 v[6:7], v[6:7], 2.0, v[10:11] op_sel_hi:[1,0,1] neg_lo:[0,0,1] neg_hi:[0,0,1]
	v_pk_fma_f32 v[0:1], v[4:5], 2.0, v[30:31] op_sel_hi:[1,0,1] neg_lo:[0,0,1] neg_hi:[0,0,1]
	ds_write2_b64 v32, v[6:7], v[0:1] offset1:1
	v_pk_mul_f32 v[0:1], v[14:15], s[0:1] op_sel_hi:[1,0]
	v_pk_fma_f32 v[6:7], v[14:15], s[0:1], v[26:27] op_sel_hi:[1,0,1]
	v_pk_add_f32 v[12:13], v[16:17], v[18:19] neg_lo:[0,1] neg_hi:[0,1]
	v_pk_add_f32 v[18:19], v[6:7], v[0:1] op_sel:[0,1] op_sel_hi:[1,0] neg_lo:[0,1] neg_hi:[0,1]
	v_pk_add_f32 v[0:1], v[6:7], v[0:1] op_sel:[0,1] op_sel_hi:[1,0]
	v_mov_b32_e32 v13, v3
	v_mov_b32_e32 v19, v1
	v_pk_fma_f32 v[4:5], v[16:17], 2.0, v[12:13] op_sel_hi:[1,0,1] neg_lo:[0,0,1] neg_hi:[0,0,1]
	v_pk_fma_f32 v[6:7], v[26:27], 2.0, v[18:19] op_sel_hi:[1,0,1] neg_lo:[0,0,1] neg_hi:[0,0,1]
	s_load_dwordx2 s[4:5], s[2:3], 0x0
	ds_write2_b64 v32, v[4:5], v[6:7] offset0:2 offset1:3
	ds_write2_b64 v32, v[10:11], v[30:31] offset0:4 offset1:5
	;; [unrolled: 1-line block ×3, first 2 shown]
	v_lshl_add_u32 v31, v28, 3, v2
	s_movk_i32 s0, 0xffc8
	s_waitcnt lgkmcnt(0)
	s_barrier
	v_lshl_add_u32 v0, v25, 3, v2
	ds_read_b64 v[16:17], v31
	ds_read_b64 v[14:15], v0
	v_mad_i32_i24 v30, v28, s0, v32
	s_waitcnt lgkmcnt(1)
	ds_read_b32 v17, v31 offset:4
	ds_read2_b64 v[8:11], v30 offset0:88 offset1:121
	ds_read2_b64 v[4:7], v30 offset0:176 offset1:209
	v_cmp_gt_u32_e64 s[0:1], 22, v28
	v_lshlrev_b32_e32 v19, 3, v24
                                        ; implicit-def: $vgpr24
	s_and_saveexec_b64 s[2:3], s[0:1]
	s_cbranch_execz .LBB0_14
; %bb.13:
	v_lshlrev_b32_e32 v12, 3, v29
	v_add3_u32 v12, 0, v12, v19
	ds_read2_b64 v[0:3], v30 offset0:154 offset1:242
	ds_read_b64 v[12:13], v12
	s_waitcnt lgkmcnt(1)
	v_mov_b32_e32 v24, v3
	v_mov_b32_e32 v18, v0
	s_waitcnt lgkmcnt(0)
	v_mov_b32_e32 v3, v13
.LBB0_14:
	s_or_b64 exec, exec, s[2:3]
	v_and_b32_e32 v26, 7, v28
	v_lshlrev_b32_e32 v0, 4, v26
	v_and_b32_e32 v32, 7, v29
	v_and_b32_e32 v27, 7, v25
	global_load_dwordx4 v[34:37], v0, s[8:9]
	v_lshlrev_b32_e32 v0, 4, v32
	global_load_dwordx4 v[38:41], v0, s[8:9]
	v_lshlrev_b32_e32 v0, 4, v27
	global_load_dwordx4 v[42:45], v0, s[8:9]
	v_mov_b32_e32 v0, v1
	v_lshrrev_b32_e32 v1, 3, v28
	v_mov_b32_e32 v13, v3
	v_lshrrev_b32_e32 v3, 3, v25
	v_mul_u32_u24_e32 v1, 24, v1
	v_mul_lo_u32 v3, v3, 24
	v_or_b32_e32 v1, v1, v26
	v_or_b32_e32 v3, v3, v27
	v_lshlrev_b32_e32 v1, 3, v1
	v_lshlrev_b32_e32 v3, 3, v3
	v_add3_u32 v33, 0, v1, v19
	v_add3_u32 v54, 0, v3, v19
	s_mov_b32 s2, 0x3f5db3d7
	s_waitcnt lgkmcnt(0)
	s_barrier
	s_waitcnt vmcnt(2)
	v_pk_mul_f32 v[26:27], v[34:35], v[8:9] op_sel:[0,1]
	v_pk_mul_f32 v[46:47], v[36:37], v[4:5] op_sel:[0,1]
	s_waitcnt vmcnt(1)
	v_pk_mul_f32 v[0:1], v[0:1], v[38:39] op_sel_hi:[0,1]
	v_pk_mul_f32 v[24:25], v[24:25], v[40:41] op_sel_hi:[0,1]
	s_waitcnt vmcnt(0)
	v_pk_mul_f32 v[48:49], v[42:43], v[10:11] op_sel:[0,1]
	v_pk_mul_f32 v[50:51], v[44:45], v[6:7] op_sel:[0,1]
	v_pk_fma_f32 v[52:53], v[34:35], v[8:9], v[26:27] op_sel:[0,0,1] op_sel_hi:[1,1,0] neg_lo:[0,0,1] neg_hi:[0,0,1]
	v_pk_fma_f32 v[8:9], v[34:35], v[8:9], v[26:27] op_sel:[0,0,1] op_sel_hi:[1,0,0]
	v_pk_fma_f32 v[26:27], v[36:37], v[4:5], v[46:47] op_sel:[0,0,1] op_sel_hi:[1,1,0] neg_lo:[0,0,1] neg_hi:[0,0,1]
	v_pk_fma_f32 v[4:5], v[36:37], v[4:5], v[46:47] op_sel:[0,0,1] op_sel_hi:[1,0,0]
	;; [unrolled: 2-line block ×6, first 2 shown]
	v_mov_b32_e32 v53, v9
	v_mov_b32_e32 v27, v5
	;; [unrolled: 1-line block ×6, first 2 shown]
	v_pk_add_f32 v[0:1], v[52:53], v[16:17]
	v_pk_add_f32 v[2:3], v[12:13], v[34:35]
	;; [unrolled: 1-line block ×3, first 2 shown]
	v_pk_add_f32 v[6:7], v[34:35], v[36:37] neg_lo:[0,1] neg_hi:[0,1]
	v_pk_add_f32 v[8:9], v[14:15], v[24:25]
	v_pk_add_f32 v[10:11], v[52:53], v[26:27]
	v_pk_add_f32 v[34:35], v[52:53], v[26:27] neg_lo:[0,1] neg_hi:[0,1]
	v_pk_add_f32 v[40:41], v[24:25], v[38:39]
	v_pk_add_f32 v[42:43], v[24:25], v[38:39] neg_lo:[0,1] neg_hi:[0,1]
	v_pk_add_f32 v[24:25], v[0:1], v[26:27]
	v_pk_fma_f32 v[0:1], v[4:5], 0.5, v[12:13] op_sel_hi:[1,0,1] neg_lo:[1,0,0] neg_hi:[1,0,0]
	v_pk_mul_f32 v[6:7], v[6:7], s[2:3] op_sel_hi:[1,0]
	v_pk_add_f32 v[4:5], v[8:9], v[38:39]
	v_pk_fma_f32 v[8:9], v[10:11], 0.5, v[16:17] op_sel_hi:[1,0,1] neg_lo:[1,0,0] neg_hi:[1,0,0]
	v_pk_mul_f32 v[12:13], v[34:35], s[2:3] op_sel_hi:[1,0]
	v_pk_fma_f32 v[16:17], v[40:41], 0.5, v[14:15] op_sel_hi:[1,0,1] neg_lo:[1,0,0] neg_hi:[1,0,0]
	v_pk_mul_f32 v[34:35], v[42:43], s[2:3] op_sel_hi:[1,0]
	v_pk_add_f32 v[10:11], v[0:1], v[6:7] op_sel:[0,1] op_sel_hi:[1,0]
	v_pk_add_f32 v[26:27], v[0:1], v[6:7] op_sel:[0,1] op_sel_hi:[1,0] neg_lo:[0,1] neg_hi:[0,1]
	v_pk_add_f32 v[14:15], v[8:9], v[12:13] op_sel:[0,1] op_sel_hi:[1,0]
	v_pk_add_f32 v[6:7], v[8:9], v[12:13] op_sel:[0,1] op_sel_hi:[1,0] neg_lo:[0,1] neg_hi:[0,1]
	v_pk_add_f32 v[2:3], v[2:3], v[36:37]
	v_pk_add_f32 v[0:1], v[16:17], v[34:35] op_sel:[0,1] op_sel_hi:[1,0]
	v_pk_add_f32 v[8:9], v[16:17], v[34:35] op_sel:[0,1] op_sel_hi:[1,0] neg_lo:[0,1] neg_hi:[0,1]
	v_mov_b32_e32 v12, v14
	v_mov_b32_e32 v13, v7
	;; [unrolled: 1-line block ×8, first 2 shown]
	ds_write2_b64 v33, v[24:25], v[12:13] offset1:8
	ds_write_b64 v33, v[16:17] offset:128
	ds_write2_b64 v54, v[4:5], v[34:35] offset1:8
	ds_write_b64 v54, v[36:37] offset:128
	s_and_saveexec_b64 s[2:3], s[0:1]
	s_cbranch_execz .LBB0_16
; %bb.15:
	v_lshrrev_b32_e32 v12, 3, v29
	v_mul_lo_u32 v12, v12, 24
	v_or_b32_e32 v12, v12, v32
	v_lshlrev_b32_e32 v12, 3, v12
	v_add3_u32 v16, 0, v12, v19
	v_mov_b32_e32 v12, v10
	v_mov_b32_e32 v13, v27
	ds_write2_b64 v16, v[2:3], v[12:13] offset1:8
	v_mov_b32_e32 v12, v26
	v_mov_b32_e32 v13, v11
	ds_write_b64 v16, v[12:13] offset:128
.LBB0_16:
	s_or_b64 exec, exec, s[2:3]
	v_cmp_gt_u32_e64 s[0:1], 24, v28
	s_waitcnt lgkmcnt(0)
	s_barrier
	s_waitcnt lgkmcnt(0)
                                        ; implicit-def: $vgpr19
	s_and_saveexec_b64 s[2:3], s[0:1]
	s_cbranch_execz .LBB0_18
; %bb.17:
	ds_read_b64 v[24:25], v31
	ds_read2_b64 v[8:11], v30 offset0:168 offset1:192
	ds_read2_b64 v[12:15], v30 offset0:24 offset1:48
	;; [unrolled: 1-line block ×5, first 2 shown]
	s_waitcnt lgkmcnt(4)
	v_mov_b32_e32 v26, v10
	v_mov_b32_e32 v27, v9
	;; [unrolled: 1-line block ×3, first 2 shown]
	s_waitcnt lgkmcnt(1)
	v_mov_b32_e32 v8, v0
	v_mov_b32_e32 v9, v7
	;; [unrolled: 1-line block ×6, first 2 shown]
.LBB0_18:
	s_or_b64 exec, exec, s[2:3]
	v_cmp_gt_u32_e64 s[2:3], 24, v28
	s_and_b64 s[2:3], vcc, s[2:3]
	s_and_saveexec_b64 s[10:11], s[2:3]
	s_cbranch_execz .LBB0_20
; %bb.19:
	v_subrev_u32_e32 v12, 24, v28
	v_cndmask_b32_e64 v12, v12, v28, s[0:1]
	v_mul_i32_i24_e32 v12, 10, v12
	v_mov_b32_e32 v13, 0
	v_lshl_add_u64 v[12:13], v[12:13], 3, s[8:9]
	global_load_dwordx4 v[30:33], v[12:13], off offset:192
	global_load_dwordx4 v[34:37], v[12:13], off offset:128
	;; [unrolled: 1-line block ×4, first 2 shown]
	s_waitcnt lgkmcnt(0)
	v_mov_b32_e32 v46, v19
	v_mov_b32_e32 v48, v17
	v_mul_lo_u32 v29, s5, v22
	s_mov_b32 s8, 0xbf0a6770
	s_mov_b32 s2, 0x3f575c64
	;; [unrolled: 1-line block ×8, first 2 shown]
	s_waitcnt vmcnt(3)
	v_pk_mul_f32 v[46:47], v[46:47], v[32:33] op_sel_hi:[0,1]
	v_pk_mul_f32 v[48:49], v[48:49], v[30:31] op_sel_hi:[0,1]
	v_pk_fma_f32 v[50:51], v[18:19], v[32:33], v[46:47] op_sel:[0,0,1] op_sel_hi:[1,1,0] neg_lo:[0,0,1] neg_hi:[0,0,1]
	v_pk_fma_f32 v[32:33], v[18:19], v[32:33], v[46:47] op_sel:[0,0,1] op_sel_hi:[0,1,0]
	v_pk_fma_f32 v[46:47], v[16:17], v[30:31], v[48:49] op_sel:[0,0,1] op_sel_hi:[1,1,0] neg_lo:[0,0,1] neg_hi:[0,0,1]
	v_pk_fma_f32 v[30:31], v[16:17], v[30:31], v[48:49] op_sel:[0,0,1] op_sel_hi:[0,1,0]
	global_load_dwordx4 v[16:19], v[12:13], off offset:160
	v_mad_u64_u32 v[12:13], s[0:1], s4, v22, 0
	v_mov_b32_e32 v22, v7
	v_mul_lo_u32 v30, s4, v23
	s_waitcnt vmcnt(3)
	v_pk_mul_f32 v[22:23], v[22:23], v[34:35] op_sel_hi:[0,1]
	v_pk_fma_f32 v[48:49], v[14:15], v[34:35], v[22:23] op_sel:[0,0,1] op_sel_hi:[1,1,0] neg_lo:[0,0,1] neg_hi:[0,0,1]
	v_pk_fma_f32 v[22:23], v[14:15], v[34:35], v[22:23] op_sel:[0,0,1] op_sel_hi:[0,1,0]
	v_mov_b32_e32 v14, v15
	v_pk_mul_f32 v[14:15], v[14:15], v[36:37] op_sel_hi:[0,1]
	v_pk_fma_f32 v[34:35], v[6:7], v[36:37], v[14:15] op_sel:[0,0,1] op_sel_hi:[1,1,0] neg_lo:[0,0,1] neg_hi:[0,0,1]
	v_pk_fma_f32 v[14:15], v[6:7], v[36:37], v[14:15] op_sel:[0,0,1] op_sel_hi:[0,1,0]
	v_mov_b32_e32 v14, v27
	s_waitcnt vmcnt(2)
	v_pk_mul_f32 v[36:37], v[14:15], v[38:39] op_sel_hi:[0,1]
	v_pk_fma_f32 v[52:53], v[10:11], v[38:39], v[36:37] op_sel:[0,0,1] op_sel_hi:[1,1,0] neg_lo:[0,0,1] neg_hi:[0,0,1]
	v_pk_fma_f32 v[36:37], v[10:11], v[38:39], v[36:37] op_sel:[0,0,1] op_sel_hi:[0,1,0]
	v_mov_b32_e32 v10, v11
	v_pk_mul_f32 v[10:11], v[10:11], v[40:41] op_sel_hi:[0,1]
	v_pk_fma_f32 v[38:39], v[26:27], v[40:41], v[10:11] op_sel:[0,0,1] op_sel_hi:[1,1,0] neg_lo:[0,0,1] neg_hi:[0,0,1]
	v_pk_fma_f32 v[26:27], v[26:27], v[40:41], v[10:11] op_sel:[0,0,1] op_sel_hi:[0,1,0]
	v_mov_b32_e32 v10, v5
	;; [unrolled: 9-line block ×3, first 2 shown]
	v_mad_u64_u32 v[6:7], s[0:1], s16, v28, 0
	v_add_u32_e32 v22, 24, v28
	v_add3_u32 v13, v13, v30, v29
	v_add_u32_e32 v26, 48, v28
	v_lshl_add_u64 v[10:11], v[12:13], 3, s[6:7]
	v_mov_b32_e32 v0, v1
	v_add_u32_e32 v1, 0x48, v28
	v_or_b32_e32 v9, 0x60, v28
	v_lshl_add_u64 v[10:11], v[20:21], 3, v[10:11]
	v_add_u32_e32 v20, 0xa8, v28
	v_mov_b32_e32 v49, v23
	v_mov_b32_e32 v51, v33
	v_mov_b32_e32 v35, v15
	v_mov_b32_e32 v47, v31
	v_mov_b32_e32 v39, v27
	v_mov_b32_e32 v53, v37
	v_mov_b32_e32 v41, v43
	v_mov_b32_e32 v55, v45
	v_pk_add_f32 v[44:45], v[52:53], v[54:55]
	s_mov_b32 s6, 0xbf7d64f0
	s_mov_b32 s4, 0xbe11bafb
	s_waitcnt vmcnt(0)
	v_pk_mul_f32 v[4:5], v[4:5], v[18:19] op_sel_hi:[0,1]
	v_pk_fma_f32 v[56:57], v[2:3], v[18:19], v[4:5] op_sel:[0,0,1] op_sel_hi:[1,1,0] neg_lo:[0,0,1] neg_hi:[0,0,1]
	v_pk_fma_f32 v[58:59], v[2:3], v[18:19], v[4:5] op_sel:[0,0,1] op_sel_hi:[0,1,0]
	v_mov_b32_e32 v2, v7
	v_mad_u64_u32 v[4:5], s[0:1], s16, v22, 0
	v_mad_u64_u32 v[2:3], s[0:1], s17, v28, v[2:3]
	v_mov_b32_e32 v12, v5
	v_mov_b32_e32 v7, v2
	v_mad_u64_u32 v[2:3], s[0:1], s16, v26, 0
	v_mad_u64_u32 v[12:13], s[0:1], s17, v22, v[12:13]
	v_mov_b32_e32 v14, v3
	;; [unrolled: 4-line block ×3, first 2 shown]
	v_mov_b32_e32 v3, v18
	v_mad_u64_u32 v[18:19], s[0:1], s17, v1, v[14:15]
	v_pk_mul_f32 v[0:1], v[0:1], v[16:17] op_sel_hi:[0,1]
	v_pk_fma_f32 v[60:61], v[8:9], v[16:17], v[0:1] op_sel:[0,0,1] op_sel_hi:[1,1,0] neg_lo:[0,0,1] neg_hi:[0,0,1]
	v_pk_fma_f32 v[62:63], v[8:9], v[16:17], v[0:1] op_sel:[0,0,1] op_sel_hi:[0,1,0]
	v_mad_u64_u32 v[0:1], s[0:1], s16, v9, 0
	v_mov_b32_e32 v8, v1
	v_mad_u64_u32 v[8:9], s[0:1], s17, v9, v[8:9]
	v_add_u32_e32 v16, 0x78, v28
	v_mov_b32_e32 v1, v8
	v_mad_u64_u32 v[8:9], s[0:1], s16, v16, 0
	v_mov_b32_e32 v14, v9
	v_mov_b32_e32 v13, v18
	v_mad_u64_u32 v[16:17], s[0:1], s17, v16, v[14:15]
	v_add_u32_e32 v18, 0x90, v28
	v_mov_b32_e32 v9, v16
	v_mad_u64_u32 v[16:17], s[0:1], s16, v18, 0
	v_mov_b32_e32 v14, v17
	v_mad_u64_u32 v[18:19], s[0:1], s17, v18, v[14:15]
	;; [unrolled: 2-line block ×4, first 2 shown]
	v_or_b32_e32 v22, 0xc0, v28
	v_mov_b32_e32 v19, v20
	v_mad_u64_u32 v[20:21], s[0:1], s16, v22, 0
	v_mov_b32_e32 v14, v21
	v_mad_u64_u32 v[64:65], s[0:1], s17, v22, v[14:15]
	v_add_u32_e32 v22, 0xd8, v28
	v_mov_b32_e32 v21, v64
	v_mad_u64_u32 v[64:65], s[0:1], s16, v22, 0
	v_mov_b32_e32 v14, v65
	v_mad_u64_u32 v[66:67], s[0:1], s17, v22, v[14:15]
	v_add_u32_e32 v22, 0xf0, v28
	v_mad_u64_u32 v[28:29], s[0:1], s16, v22, 0
	v_mov_b32_e32 v14, v29
	v_mov_b32_e32 v65, v66
	v_mad_u64_u32 v[66:67], s[0:1], s17, v22, v[14:15]
	v_mov_b32_e32 v29, v66
	v_lshl_add_u64 v[66:67], v[6:7], 3, v[10:11]
	v_lshl_add_u64 v[6:7], v[20:21], 3, v[10:11]
	v_pk_add_f32 v[20:21], v[48:49], v[50:51] neg_lo:[0,1] neg_hi:[0,1]
	v_lshl_add_u64 v[68:69], v[4:5], 3, v[10:11]
	v_lshl_add_u64 v[70:71], v[2:3], 3, v[10:11]
	;; [unrolled: 1-line block ×4, first 2 shown]
	v_pk_add_f32 v[16:17], v[50:51], v[48:49]
	v_pk_add_f32 v[18:19], v[34:35], v[46:47] neg_lo:[0,1] neg_hi:[0,1]
	v_pk_mul_f32 v[22:23], v[20:21], s[8:9] op_sel:[1,0] op_sel_hi:[0,0]
	v_lshl_add_u64 v[72:73], v[12:13], 3, v[10:11]
	v_lshl_add_u64 v[12:13], v[0:1], 3, v[10:11]
	;; [unrolled: 1-line block ×5, first 2 shown]
	v_pk_add_f32 v[14:15], v[46:47], v[34:35]
	s_mov_b32 s0, 0x3ed4b147
	v_pk_mul_f32 v[26:27], v[18:19], s[18:19] op_sel:[1,0] op_sel_hi:[0,0]
	v_pk_fma_f32 v[28:29], v[16:17], s[2:3], v[22:23] op_sel_hi:[1,0,1]
	v_pk_fma_f32 v[22:23], v[16:17], s[2:3], v[22:23] op_sel_hi:[1,0,1] neg_lo:[0,0,1] neg_hi:[0,0,1]
	v_mov_b32_e32 v30, v28
	v_mov_b32_e32 v31, v23
	v_pk_fma_f32 v[32:33], v[14:15], s[0:1], v[26:27] op_sel_hi:[1,0,1]
	v_pk_fma_f32 v[26:27], v[14:15], s[0:1], v[26:27] op_sel_hi:[1,0,1] neg_lo:[0,0,1] neg_hi:[0,0,1]
	v_pk_add_f32 v[30:31], v[24:25], v[30:31]
	v_mov_b32_e32 v36, v32
	v_mov_b32_e32 v37, v27
	v_pk_add_f32 v[30:31], v[30:31], v[36:37]
	v_pk_add_f32 v[36:37], v[24:25], v[48:49]
	v_mov_b32_e32 v61, v63
	v_pk_add_f32 v[34:35], v[36:37], v[34:35]
	v_mov_b32_e32 v57, v59
	v_pk_add_f32 v[34:35], v[34:35], v[40:41]
	v_pk_add_f32 v[48:49], v[54:55], v[52:53] neg_lo:[0,1] neg_hi:[0,1]
	v_pk_add_f32 v[34:35], v[34:35], v[54:55]
	v_mov_b32_e32 v23, v29
	v_pk_add_f32 v[34:35], v[34:35], v[60:61]
	v_pk_add_f32 v[42:43], v[60:61], v[56:57] neg_lo:[0,1] neg_hi:[0,1]
	v_pk_add_f32 v[34:35], v[56:57], v[34:35]
	s_mov_b32 s16, 0xbe903f40
	v_pk_add_f32 v[34:35], v[52:53], v[34:35]
	v_pk_add_f32 v[52:53], v[38:39], v[40:41]
	;; [unrolled: 1-line block ×3, first 2 shown]
	v_pk_add_f32 v[40:41], v[40:41], v[38:39] neg_lo:[0,1] neg_hi:[0,1]
	v_pk_add_f32 v[34:35], v[46:47], v[34:35]
	v_pk_mul_f32 v[38:39], v[40:41], s[6:7] op_sel:[1,0] op_sel_hi:[0,0]
	v_pk_add_f32 v[34:35], v[50:51], v[34:35]
	global_store_dwordx2 v[66:67], v[34:35], off
	v_pk_fma_f32 v[34:35], v[52:53], s[4:5], v[38:39] op_sel_hi:[1,0,1]
	v_pk_fma_f32 v[38:39], v[52:53], s[4:5], v[38:39] op_sel_hi:[1,0,1] neg_lo:[0,0,1] neg_hi:[0,0,1]
	v_pk_mul_f32 v[46:47], v[48:49], s[12:13] op_sel:[1,0] op_sel_hi:[0,0]
	v_mov_b32_e32 v50, v34
	v_mov_b32_e32 v51, v39
	v_pk_add_f32 v[30:31], v[30:31], v[50:51]
	v_pk_fma_f32 v[50:51], v[44:45], s[10:11], v[46:47] op_sel_hi:[1,0,1]
	v_pk_fma_f32 v[46:47], v[44:45], s[10:11], v[46:47] op_sel_hi:[1,0,1] neg_lo:[0,0,1] neg_hi:[0,0,1]
	v_mov_b32_e32 v54, v50
	v_mov_b32_e32 v55, v47
	;; [unrolled: 1-line block ×3, first 2 shown]
	v_pk_add_f32 v[22:23], v[24:25], v[22:23]
	v_pk_add_f32 v[36:37], v[56:57], v[60:61]
	;; [unrolled: 1-line block ×3, first 2 shown]
	v_pk_mul_f32 v[54:55], v[42:43], s[16:17] op_sel:[1,0] op_sel_hi:[0,0]
	v_pk_add_f32 v[22:23], v[22:23], v[26:27]
	v_mov_b32_e32 v39, v35
	v_pk_fma_f32 v[56:57], v[36:37], s[14:15], v[54:55] op_sel_hi:[1,0,1]
	v_pk_fma_f32 v[54:55], v[36:37], s[14:15], v[54:55] op_sel_hi:[1,0,1] neg_lo:[0,0,1] neg_hi:[0,0,1]
	v_pk_add_f32 v[22:23], v[22:23], v[38:39]
	v_mov_b32_e32 v47, v51
	v_mov_b32_e32 v59, v55
	v_pk_add_f32 v[22:23], v[22:23], v[46:47]
	v_mov_b32_e32 v55, v57
	v_pk_add_f32 v[22:23], v[22:23], v[54:55]
	global_store_dwordx2 v[68:69], v[22:23], off
	v_pk_mul_f32 v[22:23], v[20:21], s[18:19] op_sel:[1,0] op_sel_hi:[0,0]
	v_pk_mul_f32 v[26:27], v[18:19], s[12:13] op_sel:[1,0] op_sel_hi:[0,0]
	v_pk_fma_f32 v[34:35], v[16:17], s[0:1], v[22:23] op_sel_hi:[1,0,1]
	v_pk_fma_f32 v[22:23], v[16:17], s[0:1], v[22:23] op_sel_hi:[1,0,1] neg_lo:[0,0,1] neg_hi:[0,0,1]
	v_mov_b32_e32 v38, v34
	v_mov_b32_e32 v39, v23
	v_pk_fma_f32 v[46:47], v[14:15], s[10:11], v[26:27] op_sel_hi:[1,0,1]
	v_pk_fma_f32 v[26:27], v[14:15], s[10:11], v[26:27] op_sel_hi:[1,0,1] neg_lo:[0,0,1] neg_hi:[0,0,1]
	v_pk_mul_f32 v[28:29], v[40:41], s[20:21] op_sel:[1,0] op_sel_hi:[0,0]
	v_pk_add_f32 v[38:39], v[24:25], v[38:39]
	v_mov_b32_e32 v50, v46
	v_mov_b32_e32 v51, v27
	v_pk_add_f32 v[38:39], v[38:39], v[50:51]
	v_pk_fma_f32 v[50:51], v[52:53], s[14:15], v[28:29] op_sel_hi:[1,0,1]
	v_pk_fma_f32 v[28:29], v[52:53], s[14:15], v[28:29] op_sel_hi:[1,0,1] neg_lo:[0,0,1] neg_hi:[0,0,1]
	v_pk_mul_f32 v[32:33], v[48:49], s[22:23] op_sel:[1,0] op_sel_hi:[0,0]
	v_mov_b32_e32 v54, v50
	v_mov_b32_e32 v55, v29
	v_pk_add_f32 v[38:39], v[38:39], v[54:55]
	v_pk_fma_f32 v[54:55], v[44:45], s[4:5], v[32:33] op_sel_hi:[1,0,1]
	v_pk_fma_f32 v[32:33], v[44:45], s[4:5], v[32:33] op_sel_hi:[1,0,1] neg_lo:[0,0,1] neg_hi:[0,0,1]
	v_mov_b32_e32 v23, v35
	v_mov_b32_e32 v58, v56
	v_mov_b32_e32 v56, v54
	v_mov_b32_e32 v57, v33
	s_mov_b32 s18, 0x3f0a6770
	v_mov_b32_e32 v27, v47
	v_pk_add_f32 v[22:23], v[24:25], v[22:23]
	v_pk_add_f32 v[38:39], v[38:39], v[56:57]
	v_pk_mul_f32 v[56:57], v[42:43], s[18:19] op_sel:[1,0] op_sel_hi:[0,0]
	v_pk_add_f32 v[22:23], v[22:23], v[26:27]
	v_mov_b32_e32 v29, v51
	v_pk_add_f32 v[30:31], v[30:31], v[58:59]
	v_pk_fma_f32 v[58:59], v[36:37], s[2:3], v[56:57] op_sel_hi:[1,0,1]
	v_pk_fma_f32 v[56:57], v[36:37], s[2:3], v[56:57] op_sel_hi:[1,0,1] neg_lo:[0,0,1] neg_hi:[0,0,1]
	v_pk_add_f32 v[22:23], v[22:23], v[28:29]
	v_mov_b32_e32 v33, v55
	v_mov_b32_e32 v61, v57
	v_pk_add_f32 v[22:23], v[22:23], v[32:33]
	v_mov_b32_e32 v57, v59
	v_pk_add_f32 v[22:23], v[22:23], v[56:57]
	global_store_dwordx2 v[70:71], v[22:23], off
	v_pk_mul_f32 v[22:23], v[20:21], s[6:7] op_sel:[1,0] op_sel_hi:[0,0]
	v_pk_mul_f32 v[26:27], v[18:19], s[20:21] op_sel:[1,0] op_sel_hi:[0,0]
	v_pk_fma_f32 v[34:35], v[16:17], s[4:5], v[22:23] op_sel_hi:[1,0,1]
	v_pk_fma_f32 v[22:23], v[16:17], s[4:5], v[22:23] op_sel_hi:[1,0,1] neg_lo:[0,0,1] neg_hi:[0,0,1]
	s_mov_b32 s20, 0x3f68dda4
	v_mov_b32_e32 v46, v34
	v_mov_b32_e32 v47, v23
	v_pk_fma_f32 v[50:51], v[14:15], s[14:15], v[26:27] op_sel_hi:[1,0,1]
	v_pk_fma_f32 v[26:27], v[14:15], s[14:15], v[26:27] op_sel_hi:[1,0,1] neg_lo:[0,0,1] neg_hi:[0,0,1]
	v_pk_mul_f32 v[28:29], v[40:41], s[20:21] op_sel:[1,0] op_sel_hi:[0,0]
	v_pk_add_f32 v[46:47], v[24:25], v[46:47]
	v_mov_b32_e32 v54, v50
	v_mov_b32_e32 v55, v27
	v_pk_add_f32 v[46:47], v[46:47], v[54:55]
	v_pk_fma_f32 v[54:55], v[52:53], s[0:1], v[28:29] op_sel_hi:[1,0,1]
	v_pk_fma_f32 v[28:29], v[52:53], s[0:1], v[28:29] op_sel_hi:[1,0,1] neg_lo:[0,0,1] neg_hi:[0,0,1]
	v_pk_mul_f32 v[32:33], v[48:49], s[8:9] op_sel:[1,0] op_sel_hi:[0,0]
	v_mov_b32_e32 v56, v54
	v_mov_b32_e32 v57, v29
	v_pk_add_f32 v[46:47], v[46:47], v[56:57]
	v_pk_fma_f32 v[56:57], v[44:45], s[2:3], v[32:33] op_sel_hi:[1,0,1]
	v_pk_fma_f32 v[32:33], v[44:45], s[2:3], v[32:33] op_sel_hi:[1,0,1] neg_lo:[0,0,1] neg_hi:[0,0,1]
	v_mov_b32_e32 v23, v35
	v_mov_b32_e32 v60, v58
	;; [unrolled: 1-line block ×5, first 2 shown]
	v_pk_add_f32 v[22:23], v[24:25], v[22:23]
	v_pk_add_f32 v[46:47], v[46:47], v[58:59]
	v_pk_mul_f32 v[58:59], v[42:43], s[12:13] op_sel:[1,0] op_sel_hi:[0,0]
	v_pk_add_f32 v[22:23], v[22:23], v[26:27]
	v_mov_b32_e32 v29, v55
	v_pk_add_f32 v[38:39], v[38:39], v[60:61]
	v_pk_fma_f32 v[60:61], v[36:37], s[10:11], v[58:59] op_sel_hi:[1,0,1]
	v_pk_fma_f32 v[58:59], v[36:37], s[10:11], v[58:59] op_sel_hi:[1,0,1] neg_lo:[0,0,1] neg_hi:[0,0,1]
	v_pk_add_f32 v[22:23], v[22:23], v[28:29]
	v_mov_b32_e32 v33, v57
	v_mov_b32_e32 v63, v59
	v_pk_add_f32 v[22:23], v[22:23], v[32:33]
	v_mov_b32_e32 v59, v61
	v_pk_add_f32 v[22:23], v[22:23], v[58:59]
	global_store_dwordx2 v[72:73], v[22:23], off
	v_pk_mul_f32 v[22:23], v[20:21], s[12:13] op_sel:[1,0] op_sel_hi:[0,0]
	v_pk_mul_f32 v[26:27], v[18:19], s[22:23] op_sel:[1,0] op_sel_hi:[0,0]
	v_pk_fma_f32 v[34:35], v[16:17], s[10:11], v[22:23] op_sel_hi:[1,0,1]
	v_pk_fma_f32 v[22:23], v[16:17], s[10:11], v[22:23] op_sel_hi:[1,0,1] neg_lo:[0,0,1] neg_hi:[0,0,1]
	v_mov_b32_e32 v50, v34
	v_mov_b32_e32 v51, v23
	v_pk_fma_f32 v[54:55], v[14:15], s[4:5], v[26:27] op_sel_hi:[1,0,1]
	v_pk_fma_f32 v[26:27], v[14:15], s[4:5], v[26:27] op_sel_hi:[1,0,1] neg_lo:[0,0,1] neg_hi:[0,0,1]
	v_pk_mul_f32 v[28:29], v[40:41], s[8:9] op_sel:[1,0] op_sel_hi:[0,0]
	v_pk_add_f32 v[50:51], v[24:25], v[50:51]
	v_mov_b32_e32 v56, v54
	v_mov_b32_e32 v57, v27
	v_pk_add_f32 v[50:51], v[50:51], v[56:57]
	v_pk_fma_f32 v[56:57], v[52:53], s[2:3], v[28:29] op_sel_hi:[1,0,1]
	v_pk_fma_f32 v[28:29], v[52:53], s[2:3], v[28:29] op_sel_hi:[1,0,1] neg_lo:[0,0,1] neg_hi:[0,0,1]
	v_pk_mul_f32 v[32:33], v[48:49], s[16:17] op_sel:[1,0] op_sel_hi:[0,0]
	v_mov_b32_e32 v58, v56
	v_mov_b32_e32 v59, v29
	v_pk_add_f32 v[50:51], v[50:51], v[58:59]
	v_pk_fma_f32 v[58:59], v[44:45], s[14:15], v[32:33] op_sel_hi:[1,0,1]
	v_pk_fma_f32 v[32:33], v[44:45], s[14:15], v[32:33] op_sel_hi:[1,0,1] neg_lo:[0,0,1] neg_hi:[0,0,1]
	v_mov_b32_e32 v23, v35
	v_mov_b32_e32 v62, v60
	;; [unrolled: 1-line block ×5, first 2 shown]
	v_pk_add_f32 v[22:23], v[24:25], v[22:23]
	v_pk_add_f32 v[50:51], v[50:51], v[60:61]
	v_pk_mul_f32 v[60:61], v[42:43], s[20:21] op_sel:[1,0] op_sel_hi:[0,0]
	v_pk_add_f32 v[22:23], v[22:23], v[26:27]
	v_mov_b32_e32 v29, v57
	v_pk_add_f32 v[46:47], v[46:47], v[62:63]
	v_pk_fma_f32 v[62:63], v[36:37], s[0:1], v[60:61] op_sel_hi:[1,0,1]
	v_pk_fma_f32 v[60:61], v[36:37], s[0:1], v[60:61] op_sel_hi:[1,0,1] neg_lo:[0,0,1] neg_hi:[0,0,1]
	v_pk_add_f32 v[22:23], v[22:23], v[28:29]
	v_mov_b32_e32 v33, v59
	v_mov_b32_e32 v65, v61
	v_pk_add_f32 v[22:23], v[22:23], v[32:33]
	v_mov_b32_e32 v61, v63
	v_pk_add_f32 v[22:23], v[22:23], v[60:61]
	global_store_dwordx2 v[12:13], v[22:23], off
	v_pk_mul_f32 v[12:13], v[20:21], s[16:17] op_sel:[1,0] op_sel_hi:[0,0]
	v_pk_fma_f32 v[20:21], v[16:17], s[14:15], v[12:13] op_sel_hi:[1,0,1]
	v_pk_fma_f32 v[12:13], v[16:17], s[14:15], v[12:13] op_sel_hi:[1,0,1] neg_lo:[0,0,1] neg_hi:[0,0,1]
	v_pk_mul_f32 v[18:19], v[18:19], s[18:19] op_sel:[1,0] op_sel_hi:[0,0]
	v_mov_b32_e32 v16, v20
	v_mov_b32_e32 v17, v13
	v_pk_fma_f32 v[22:23], v[14:15], s[2:3], v[18:19] op_sel_hi:[1,0,1]
	v_pk_fma_f32 v[14:15], v[14:15], s[2:3], v[18:19] op_sel_hi:[1,0,1] neg_lo:[0,0,1] neg_hi:[0,0,1]
	v_pk_add_f32 v[16:17], v[24:25], v[16:17]
	v_mov_b32_e32 v18, v22
	v_mov_b32_e32 v19, v15
	v_pk_add_f32 v[16:17], v[16:17], v[18:19]
	v_pk_mul_f32 v[18:19], v[40:41], s[12:13] op_sel:[1,0] op_sel_hi:[0,0]
	v_pk_fma_f32 v[26:27], v[52:53], s[10:11], v[18:19] op_sel_hi:[1,0,1]
	v_pk_fma_f32 v[18:19], v[52:53], s[10:11], v[18:19] op_sel_hi:[1,0,1] neg_lo:[0,0,1] neg_hi:[0,0,1]
	v_mov_b32_e32 v28, v26
	v_mov_b32_e32 v29, v19
	v_pk_add_f32 v[16:17], v[16:17], v[28:29]
	v_pk_mul_f32 v[28:29], v[48:49], s[20:21] op_sel:[1,0] op_sel_hi:[0,0]
	v_pk_fma_f32 v[32:33], v[44:45], s[0:1], v[28:29] op_sel_hi:[1,0,1]
	v_pk_fma_f32 v[28:29], v[44:45], s[0:1], v[28:29] op_sel_hi:[1,0,1] neg_lo:[0,0,1] neg_hi:[0,0,1]
	v_mov_b32_e32 v13, v21
	v_mov_b32_e32 v34, v32
	;; [unrolled: 1-line block ×3, first 2 shown]
	v_pk_add_f32 v[12:13], v[24:25], v[12:13]
	v_mov_b32_e32 v15, v23
	v_pk_add_f32 v[16:17], v[16:17], v[34:35]
	v_pk_mul_f32 v[34:35], v[42:43], s[6:7] op_sel:[1,0] op_sel_hi:[0,0]
	v_pk_add_f32 v[12:13], v[12:13], v[14:15]
	v_mov_b32_e32 v19, v27
	v_pk_fma_f32 v[40:41], v[36:37], s[4:5], v[34:35] op_sel_hi:[1,0,1]
	v_pk_fma_f32 v[34:35], v[36:37], s[4:5], v[34:35] op_sel_hi:[1,0,1] neg_lo:[0,0,1] neg_hi:[0,0,1]
	v_pk_add_f32 v[12:13], v[12:13], v[18:19]
	v_mov_b32_e32 v29, v33
	v_mov_b32_e32 v37, v35
	v_pk_add_f32 v[12:13], v[12:13], v[28:29]
	v_mov_b32_e32 v35, v41
	v_mov_b32_e32 v64, v62
	;; [unrolled: 1-line block ×3, first 2 shown]
	v_pk_add_f32 v[12:13], v[12:13], v[34:35]
	v_pk_add_f32 v[50:51], v[50:51], v[64:65]
	;; [unrolled: 1-line block ×3, first 2 shown]
	global_store_dwordx2 v[0:1], v[12:13], off
	global_store_dwordx2 v[2:3], v[16:17], off
	;; [unrolled: 1-line block ×6, first 2 shown]
.LBB0_20:
	s_endpgm
	.section	.rodata,"a",@progbits
	.p2align	6, 0x0
	.amdhsa_kernel fft_rtc_fwd_len264_factors_8_3_11_wgs_231_tpt_33_sp_op_CI_CI_sbrr_dirReg
		.amdhsa_group_segment_fixed_size 0
		.amdhsa_private_segment_fixed_size 0
		.amdhsa_kernarg_size 104
		.amdhsa_user_sgpr_count 2
		.amdhsa_user_sgpr_dispatch_ptr 0
		.amdhsa_user_sgpr_queue_ptr 0
		.amdhsa_user_sgpr_kernarg_segment_ptr 1
		.amdhsa_user_sgpr_dispatch_id 0
		.amdhsa_user_sgpr_kernarg_preload_length 0
		.amdhsa_user_sgpr_kernarg_preload_offset 0
		.amdhsa_user_sgpr_private_segment_size 0
		.amdhsa_uses_dynamic_stack 0
		.amdhsa_enable_private_segment 0
		.amdhsa_system_sgpr_workgroup_id_x 1
		.amdhsa_system_sgpr_workgroup_id_y 0
		.amdhsa_system_sgpr_workgroup_id_z 0
		.amdhsa_system_sgpr_workgroup_info 0
		.amdhsa_system_vgpr_workitem_id 0
		.amdhsa_next_free_vgpr 74
		.amdhsa_next_free_sgpr 32
		.amdhsa_accum_offset 76
		.amdhsa_reserve_vcc 1
		.amdhsa_float_round_mode_32 0
		.amdhsa_float_round_mode_16_64 0
		.amdhsa_float_denorm_mode_32 3
		.amdhsa_float_denorm_mode_16_64 3
		.amdhsa_dx10_clamp 1
		.amdhsa_ieee_mode 1
		.amdhsa_fp16_overflow 0
		.amdhsa_tg_split 0
		.amdhsa_exception_fp_ieee_invalid_op 0
		.amdhsa_exception_fp_denorm_src 0
		.amdhsa_exception_fp_ieee_div_zero 0
		.amdhsa_exception_fp_ieee_overflow 0
		.amdhsa_exception_fp_ieee_underflow 0
		.amdhsa_exception_fp_ieee_inexact 0
		.amdhsa_exception_int_div_zero 0
	.end_amdhsa_kernel
	.text
.Lfunc_end0:
	.size	fft_rtc_fwd_len264_factors_8_3_11_wgs_231_tpt_33_sp_op_CI_CI_sbrr_dirReg, .Lfunc_end0-fft_rtc_fwd_len264_factors_8_3_11_wgs_231_tpt_33_sp_op_CI_CI_sbrr_dirReg
                                        ; -- End function
	.section	.AMDGPU.csdata,"",@progbits
; Kernel info:
; codeLenInByte = 5680
; NumSgprs: 38
; NumVgprs: 74
; NumAgprs: 0
; TotalNumVgprs: 74
; ScratchSize: 0
; MemoryBound: 0
; FloatMode: 240
; IeeeMode: 1
; LDSByteSize: 0 bytes/workgroup (compile time only)
; SGPRBlocks: 4
; VGPRBlocks: 9
; NumSGPRsForWavesPerEU: 38
; NumVGPRsForWavesPerEU: 74
; AccumOffset: 76
; Occupancy: 6
; WaveLimiterHint : 1
; COMPUTE_PGM_RSRC2:SCRATCH_EN: 0
; COMPUTE_PGM_RSRC2:USER_SGPR: 2
; COMPUTE_PGM_RSRC2:TRAP_HANDLER: 0
; COMPUTE_PGM_RSRC2:TGID_X_EN: 1
; COMPUTE_PGM_RSRC2:TGID_Y_EN: 0
; COMPUTE_PGM_RSRC2:TGID_Z_EN: 0
; COMPUTE_PGM_RSRC2:TIDIG_COMP_CNT: 0
; COMPUTE_PGM_RSRC3_GFX90A:ACCUM_OFFSET: 18
; COMPUTE_PGM_RSRC3_GFX90A:TG_SPLIT: 0
	.text
	.p2alignl 6, 3212836864
	.fill 256, 4, 3212836864
	.type	__hip_cuid_233fceec4796750c,@object ; @__hip_cuid_233fceec4796750c
	.section	.bss,"aw",@nobits
	.globl	__hip_cuid_233fceec4796750c
__hip_cuid_233fceec4796750c:
	.byte	0                               ; 0x0
	.size	__hip_cuid_233fceec4796750c, 1

	.ident	"AMD clang version 19.0.0git (https://github.com/RadeonOpenCompute/llvm-project roc-6.4.0 25133 c7fe45cf4b819c5991fe208aaa96edf142730f1d)"
	.section	".note.GNU-stack","",@progbits
	.addrsig
	.addrsig_sym __hip_cuid_233fceec4796750c
	.amdgpu_metadata
---
amdhsa.kernels:
  - .agpr_count:     0
    .args:
      - .actual_access:  read_only
        .address_space:  global
        .offset:         0
        .size:           8
        .value_kind:     global_buffer
      - .offset:         8
        .size:           8
        .value_kind:     by_value
      - .actual_access:  read_only
        .address_space:  global
        .offset:         16
        .size:           8
        .value_kind:     global_buffer
      - .actual_access:  read_only
        .address_space:  global
        .offset:         24
        .size:           8
        .value_kind:     global_buffer
      - .actual_access:  read_only
        .address_space:  global
        .offset:         32
        .size:           8
        .value_kind:     global_buffer
      - .offset:         40
        .size:           8
        .value_kind:     by_value
      - .actual_access:  read_only
        .address_space:  global
        .offset:         48
        .size:           8
        .value_kind:     global_buffer
      - .actual_access:  read_only
        .address_space:  global
        .offset:         56
        .size:           8
        .value_kind:     global_buffer
      - .offset:         64
        .size:           4
        .value_kind:     by_value
      - .actual_access:  read_only
        .address_space:  global
        .offset:         72
        .size:           8
        .value_kind:     global_buffer
      - .actual_access:  read_only
        .address_space:  global
        .offset:         80
        .size:           8
        .value_kind:     global_buffer
      - .actual_access:  read_only
        .address_space:  global
        .offset:         88
        .size:           8
        .value_kind:     global_buffer
      - .actual_access:  write_only
        .address_space:  global
        .offset:         96
        .size:           8
        .value_kind:     global_buffer
    .group_segment_fixed_size: 0
    .kernarg_segment_align: 8
    .kernarg_segment_size: 104
    .language:       OpenCL C
    .language_version:
      - 2
      - 0
    .max_flat_workgroup_size: 231
    .name:           fft_rtc_fwd_len264_factors_8_3_11_wgs_231_tpt_33_sp_op_CI_CI_sbrr_dirReg
    .private_segment_fixed_size: 0
    .sgpr_count:     38
    .sgpr_spill_count: 0
    .symbol:         fft_rtc_fwd_len264_factors_8_3_11_wgs_231_tpt_33_sp_op_CI_CI_sbrr_dirReg.kd
    .uniform_work_group_size: 1
    .uses_dynamic_stack: false
    .vgpr_count:     74
    .vgpr_spill_count: 0
    .wavefront_size: 64
amdhsa.target:   amdgcn-amd-amdhsa--gfx950
amdhsa.version:
  - 1
  - 2
...

	.end_amdgpu_metadata
